;; amdgpu-corpus repo=ROCm/rocFFT kind=compiled arch=gfx906 opt=O3
	.text
	.amdgcn_target "amdgcn-amd-amdhsa--gfx906"
	.amdhsa_code_object_version 6
	.protected	fft_rtc_back_len726_factors_11_6_11_wgs_132_tpt_66_sp_ip_CI_unitstride_sbrr_C2R_dirReg ; -- Begin function fft_rtc_back_len726_factors_11_6_11_wgs_132_tpt_66_sp_ip_CI_unitstride_sbrr_C2R_dirReg
	.globl	fft_rtc_back_len726_factors_11_6_11_wgs_132_tpt_66_sp_ip_CI_unitstride_sbrr_C2R_dirReg
	.p2align	8
	.type	fft_rtc_back_len726_factors_11_6_11_wgs_132_tpt_66_sp_ip_CI_unitstride_sbrr_C2R_dirReg,@function
fft_rtc_back_len726_factors_11_6_11_wgs_132_tpt_66_sp_ip_CI_unitstride_sbrr_C2R_dirReg: ; @fft_rtc_back_len726_factors_11_6_11_wgs_132_tpt_66_sp_ip_CI_unitstride_sbrr_C2R_dirReg
; %bb.0:
	s_load_dwordx2 s[2:3], s[4:5], 0x50
	s_load_dwordx4 s[8:11], s[4:5], 0x0
	s_load_dwordx2 s[12:13], s[4:5], 0x18
	v_mul_u32_u24_e32 v1, 0x3e1, v0
	v_lshrrev_b32_e32 v9, 16, v1
	v_mov_b32_e32 v3, 0
	s_waitcnt lgkmcnt(0)
	v_cmp_lt_u64_e64 s[0:1], s[10:11], 2
	v_mov_b32_e32 v1, 0
	v_lshl_add_u32 v5, s6, 1, v9
	v_mov_b32_e32 v6, v3
	s_and_b64 vcc, exec, s[0:1]
	v_mov_b32_e32 v2, 0
	s_cbranch_vccnz .LBB0_8
; %bb.1:
	s_load_dwordx2 s[0:1], s[4:5], 0x10
	s_add_u32 s6, s12, 8
	s_addc_u32 s7, s13, 0
	v_mov_b32_e32 v1, 0
	v_mov_b32_e32 v2, 0
	s_waitcnt lgkmcnt(0)
	s_add_u32 s14, s0, 8
	s_addc_u32 s15, s1, 0
	s_mov_b64 s[16:17], 1
.LBB0_2:                                ; =>This Inner Loop Header: Depth=1
	s_load_dwordx2 s[18:19], s[14:15], 0x0
                                        ; implicit-def: $vgpr7_vgpr8
	s_waitcnt lgkmcnt(0)
	v_or_b32_e32 v4, s19, v6
	v_cmp_ne_u64_e32 vcc, 0, v[3:4]
	s_and_saveexec_b64 s[0:1], vcc
	s_xor_b64 s[20:21], exec, s[0:1]
	s_cbranch_execz .LBB0_4
; %bb.3:                                ;   in Loop: Header=BB0_2 Depth=1
	v_cvt_f32_u32_e32 v4, s18
	v_cvt_f32_u32_e32 v7, s19
	s_sub_u32 s0, 0, s18
	s_subb_u32 s1, 0, s19
	v_mac_f32_e32 v4, 0x4f800000, v7
	v_rcp_f32_e32 v4, v4
	v_mul_f32_e32 v4, 0x5f7ffffc, v4
	v_mul_f32_e32 v7, 0x2f800000, v4
	v_trunc_f32_e32 v7, v7
	v_mac_f32_e32 v4, 0xcf800000, v7
	v_cvt_u32_f32_e32 v7, v7
	v_cvt_u32_f32_e32 v4, v4
	v_mul_lo_u32 v8, s0, v7
	v_mul_hi_u32 v10, s0, v4
	v_mul_lo_u32 v12, s1, v4
	v_mul_lo_u32 v11, s0, v4
	v_add_u32_e32 v8, v10, v8
	v_add_u32_e32 v8, v8, v12
	v_mul_hi_u32 v10, v4, v11
	v_mul_lo_u32 v12, v4, v8
	v_mul_hi_u32 v14, v4, v8
	v_mul_hi_u32 v13, v7, v11
	v_mul_lo_u32 v11, v7, v11
	v_mul_hi_u32 v15, v7, v8
	v_add_co_u32_e32 v10, vcc, v10, v12
	v_addc_co_u32_e32 v12, vcc, 0, v14, vcc
	v_mul_lo_u32 v8, v7, v8
	v_add_co_u32_e32 v10, vcc, v10, v11
	v_addc_co_u32_e32 v10, vcc, v12, v13, vcc
	v_addc_co_u32_e32 v11, vcc, 0, v15, vcc
	v_add_co_u32_e32 v8, vcc, v10, v8
	v_addc_co_u32_e32 v10, vcc, 0, v11, vcc
	v_add_co_u32_e32 v4, vcc, v4, v8
	v_addc_co_u32_e32 v7, vcc, v7, v10, vcc
	v_mul_lo_u32 v8, s0, v7
	v_mul_hi_u32 v10, s0, v4
	v_mul_lo_u32 v11, s1, v4
	v_mul_lo_u32 v12, s0, v4
	v_add_u32_e32 v8, v10, v8
	v_add_u32_e32 v8, v8, v11
	v_mul_lo_u32 v13, v4, v8
	v_mul_hi_u32 v14, v4, v12
	v_mul_hi_u32 v15, v4, v8
	;; [unrolled: 1-line block ×3, first 2 shown]
	v_mul_lo_u32 v12, v7, v12
	v_mul_hi_u32 v10, v7, v8
	v_add_co_u32_e32 v13, vcc, v14, v13
	v_addc_co_u32_e32 v14, vcc, 0, v15, vcc
	v_mul_lo_u32 v8, v7, v8
	v_add_co_u32_e32 v12, vcc, v13, v12
	v_addc_co_u32_e32 v11, vcc, v14, v11, vcc
	v_addc_co_u32_e32 v10, vcc, 0, v10, vcc
	v_add_co_u32_e32 v8, vcc, v11, v8
	v_addc_co_u32_e32 v10, vcc, 0, v10, vcc
	v_add_co_u32_e32 v4, vcc, v4, v8
	v_addc_co_u32_e32 v10, vcc, v7, v10, vcc
	v_mad_u64_u32 v[7:8], s[0:1], v5, v10, 0
	v_mul_hi_u32 v11, v5, v4
	v_add_co_u32_e32 v12, vcc, v11, v7
	v_addc_co_u32_e32 v13, vcc, 0, v8, vcc
	v_mad_u64_u32 v[7:8], s[0:1], v6, v4, 0
	v_mad_u64_u32 v[10:11], s[0:1], v6, v10, 0
	v_add_co_u32_e32 v4, vcc, v12, v7
	v_addc_co_u32_e32 v4, vcc, v13, v8, vcc
	v_addc_co_u32_e32 v7, vcc, 0, v11, vcc
	v_add_co_u32_e32 v4, vcc, v4, v10
	v_addc_co_u32_e32 v10, vcc, 0, v7, vcc
	v_mul_lo_u32 v11, s19, v4
	v_mul_lo_u32 v12, s18, v10
	v_mad_u64_u32 v[7:8], s[0:1], s18, v4, 0
	v_add3_u32 v8, v8, v12, v11
	v_sub_u32_e32 v11, v6, v8
	v_mov_b32_e32 v12, s19
	v_sub_co_u32_e32 v7, vcc, v5, v7
	v_subb_co_u32_e64 v11, s[0:1], v11, v12, vcc
	v_subrev_co_u32_e64 v12, s[0:1], s18, v7
	v_subbrev_co_u32_e64 v11, s[0:1], 0, v11, s[0:1]
	v_cmp_le_u32_e64 s[0:1], s19, v11
	v_cndmask_b32_e64 v13, 0, -1, s[0:1]
	v_cmp_le_u32_e64 s[0:1], s18, v12
	v_cndmask_b32_e64 v12, 0, -1, s[0:1]
	v_cmp_eq_u32_e64 s[0:1], s19, v11
	v_cndmask_b32_e64 v11, v13, v12, s[0:1]
	v_add_co_u32_e64 v12, s[0:1], 2, v4
	v_addc_co_u32_e64 v13, s[0:1], 0, v10, s[0:1]
	v_add_co_u32_e64 v14, s[0:1], 1, v4
	v_addc_co_u32_e64 v15, s[0:1], 0, v10, s[0:1]
	v_subb_co_u32_e32 v8, vcc, v6, v8, vcc
	v_cmp_ne_u32_e64 s[0:1], 0, v11
	v_cmp_le_u32_e32 vcc, s19, v8
	v_cndmask_b32_e64 v11, v15, v13, s[0:1]
	v_cndmask_b32_e64 v13, 0, -1, vcc
	v_cmp_le_u32_e32 vcc, s18, v7
	v_cndmask_b32_e64 v7, 0, -1, vcc
	v_cmp_eq_u32_e32 vcc, s19, v8
	v_cndmask_b32_e32 v7, v13, v7, vcc
	v_cmp_ne_u32_e32 vcc, 0, v7
	v_cndmask_b32_e64 v7, v14, v12, s[0:1]
	v_cndmask_b32_e32 v8, v10, v11, vcc
	v_cndmask_b32_e32 v7, v4, v7, vcc
.LBB0_4:                                ;   in Loop: Header=BB0_2 Depth=1
	s_andn2_saveexec_b64 s[0:1], s[20:21]
	s_cbranch_execz .LBB0_6
; %bb.5:                                ;   in Loop: Header=BB0_2 Depth=1
	v_cvt_f32_u32_e32 v4, s18
	s_sub_i32 s20, 0, s18
	v_rcp_iflag_f32_e32 v4, v4
	v_mul_f32_e32 v4, 0x4f7ffffe, v4
	v_cvt_u32_f32_e32 v4, v4
	v_mul_lo_u32 v7, s20, v4
	v_mul_hi_u32 v7, v4, v7
	v_add_u32_e32 v4, v4, v7
	v_mul_hi_u32 v4, v5, v4
	v_mul_lo_u32 v7, v4, s18
	v_add_u32_e32 v8, 1, v4
	v_sub_u32_e32 v7, v5, v7
	v_subrev_u32_e32 v10, s18, v7
	v_cmp_le_u32_e32 vcc, s18, v7
	v_cndmask_b32_e32 v7, v7, v10, vcc
	v_cndmask_b32_e32 v4, v4, v8, vcc
	v_add_u32_e32 v8, 1, v4
	v_cmp_le_u32_e32 vcc, s18, v7
	v_cndmask_b32_e32 v7, v4, v8, vcc
	v_mov_b32_e32 v8, v3
.LBB0_6:                                ;   in Loop: Header=BB0_2 Depth=1
	s_or_b64 exec, exec, s[0:1]
	v_mul_lo_u32 v4, v8, s18
	v_mul_lo_u32 v12, v7, s19
	v_mad_u64_u32 v[10:11], s[0:1], v7, s18, 0
	s_load_dwordx2 s[0:1], s[6:7], 0x0
	s_add_u32 s16, s16, 1
	v_add3_u32 v4, v11, v12, v4
	v_sub_co_u32_e32 v5, vcc, v5, v10
	v_subb_co_u32_e32 v4, vcc, v6, v4, vcc
	s_waitcnt lgkmcnt(0)
	v_mul_lo_u32 v4, s0, v4
	v_mul_lo_u32 v6, s1, v5
	v_mad_u64_u32 v[1:2], s[0:1], s0, v5, v[1:2]
	s_addc_u32 s17, s17, 0
	s_add_u32 s6, s6, 8
	v_add3_u32 v2, v6, v2, v4
	v_mov_b32_e32 v4, s10
	v_mov_b32_e32 v5, s11
	s_addc_u32 s7, s7, 0
	v_cmp_ge_u64_e32 vcc, s[16:17], v[4:5]
	s_add_u32 s14, s14, 8
	s_addc_u32 s15, s15, 0
	s_cbranch_vccnz .LBB0_9
; %bb.7:                                ;   in Loop: Header=BB0_2 Depth=1
	v_mov_b32_e32 v5, v7
	v_mov_b32_e32 v6, v8
	s_branch .LBB0_2
.LBB0_8:
	v_mov_b32_e32 v8, v6
	v_mov_b32_e32 v7, v5
.LBB0_9:
	s_lshl_b64 s[0:1], s[10:11], 3
	s_add_u32 s0, s12, s0
	s_addc_u32 s1, s13, s1
	s_load_dwordx2 s[6:7], s[0:1], 0x0
	s_load_dwordx2 s[10:11], s[4:5], 0x20
	v_mov_b32_e32 v6, 0x2d7
	s_waitcnt lgkmcnt(0)
	v_mul_lo_u32 v4, s6, v8
	v_mul_lo_u32 v5, s7, v7
	v_mad_u64_u32 v[2:3], s[0:1], s6, v7, v[1:2]
	s_mov_b32 s0, 0x3e0f83f
	v_and_b32_e32 v1, 1, v9
	v_add3_u32 v3, v5, v3, v4
	v_mul_hi_u32 v4, v0, s0
	v_cmp_eq_u32_e32 vcc, 1, v1
	v_cndmask_b32_e32 v1, 0, v6, vcc
	v_cmp_gt_u64_e64 s[0:1], s[10:11], v[7:8]
	v_mul_u32_u24_e32 v4, 0x42, v4
	v_lshlrev_b64 v[18:19], 3, v[2:3]
	v_sub_u32_e32 v16, v0, v4
	v_lshlrev_b32_e32 v30, 3, v1
	s_and_saveexec_b64 s[4:5], s[0:1]
	s_cbranch_execz .LBB0_13
; %bb.10:
	v_mov_b32_e32 v17, 0
	v_mov_b32_e32 v0, s3
	v_add_co_u32_e32 v2, vcc, s2, v18
	v_lshlrev_b64 v[3:4], 3, v[16:17]
	v_addc_co_u32_e32 v0, vcc, v0, v19, vcc
	v_add_co_u32_e32 v3, vcc, v2, v3
	v_addc_co_u32_e32 v4, vcc, v0, v4, vcc
	v_add_co_u32_e32 v13, vcc, 0x1000, v3
	global_load_dwordx2 v[5:6], v[3:4], off
	global_load_dwordx2 v[7:8], v[3:4], off offset:528
	global_load_dwordx2 v[9:10], v[3:4], off offset:1056
	;; [unrolled: 1-line block ×3, first 2 shown]
	v_addc_co_u32_e32 v14, vcc, 0, v4, vcc
	global_load_dwordx2 v[20:21], v[3:4], off offset:2112
	global_load_dwordx2 v[22:23], v[3:4], off offset:2640
	;; [unrolled: 1-line block ×7, first 2 shown]
	v_lshlrev_b32_e32 v3, 3, v16
	s_movk_i32 s6, 0x41
	v_add3_u32 v3, 0, v30, v3
	v_cmp_eq_u32_e32 vcc, s6, v16
	v_add_u32_e32 v4, 0x800, v3
	v_add_u32_e32 v13, 0x1000, v3
	s_waitcnt vmcnt(9)
	ds_write2_b64 v3, v[5:6], v[7:8] offset1:66
	s_waitcnt vmcnt(7)
	ds_write2_b64 v3, v[9:10], v[11:12] offset0:132 offset1:198
	s_waitcnt vmcnt(5)
	ds_write2_b64 v4, v[20:21], v[22:23] offset0:8 offset1:74
	;; [unrolled: 2-line block ×4, first 2 shown]
	s_waitcnt vmcnt(0)
	ds_write_b64 v3, v[33:34] offset:5280
	s_and_saveexec_b64 s[6:7], vcc
	s_cbranch_execz .LBB0_12
; %bb.11:
	v_add_co_u32_e32 v4, vcc, 0x1000, v2
	v_addc_co_u32_e32 v5, vcc, 0, v0, vcc
	global_load_dwordx2 v[4:5], v[4:5], off offset:1712
	v_mov_b32_e32 v16, 0x41
	s_waitcnt vmcnt(0)
	ds_write_b64 v3, v[4:5] offset:5288
.LBB0_12:
	s_or_b64 exec, exec, s[6:7]
.LBB0_13:
	s_or_b64 exec, exec, s[4:5]
	v_lshl_add_u32 v28, v1, 3, 0
	v_lshlrev_b32_e32 v6, 3, v16
	v_add_u32_e32 v29, v28, v6
	s_waitcnt lgkmcnt(0)
	s_barrier
	v_sub_u32_e32 v4, v28, v6
	ds_read_b32 v5, v29
	ds_read_b32 v7, v4 offset:5808
	s_add_u32 s6, s8, 0x1658
	s_addc_u32 s7, s9, 0
	v_cmp_ne_u32_e32 vcc, 0, v16
                                        ; implicit-def: $vgpr0_vgpr1
	s_waitcnt lgkmcnt(0)
	v_add_f32_e32 v2, v7, v5
	v_sub_f32_e32 v3, v5, v7
	s_and_saveexec_b64 s[4:5], vcc
	s_xor_b64 s[4:5], exec, s[4:5]
	s_cbranch_execz .LBB0_15
; %bb.14:
	v_mov_b32_e32 v17, 0
	v_lshlrev_b64 v[0:1], 3, v[16:17]
	v_mov_b32_e32 v2, s7
	v_add_co_u32_e32 v0, vcc, s6, v0
	v_addc_co_u32_e32 v1, vcc, v2, v1, vcc
	global_load_dwordx2 v[0:1], v[0:1], off
	ds_read_b32 v2, v4 offset:5812
	ds_read_b32 v3, v29 offset:4
	v_add_f32_e32 v8, v7, v5
	v_sub_f32_e32 v5, v5, v7
	s_waitcnt lgkmcnt(0)
	v_add_f32_e32 v9, v2, v3
	v_sub_f32_e32 v2, v3, v2
	s_waitcnt vmcnt(0)
	v_fma_f32 v10, v5, v1, v8
	v_fma_f32 v3, v9, v1, v2
	v_fma_f32 v7, -v5, v1, v8
	v_fma_f32 v8, v9, v1, -v2
	v_fma_f32 v2, -v0, v9, v10
	v_fmac_f32_e32 v3, v5, v0
	v_fmac_f32_e32 v7, v0, v9
	;; [unrolled: 1-line block ×3, first 2 shown]
	v_mov_b32_e32 v0, v16
	ds_write_b64 v4, v[7:8] offset:5808
	v_mov_b32_e32 v1, v17
.LBB0_15:
	s_andn2_saveexec_b64 s[4:5], s[4:5]
	s_cbranch_execz .LBB0_17
; %bb.16:
	ds_read_b64 v[0:1], v28 offset:2904
	s_waitcnt lgkmcnt(0)
	v_add_f32_e32 v7, v0, v0
	v_mul_f32_e32 v8, -2.0, v1
	v_mov_b32_e32 v0, 0
	v_mov_b32_e32 v1, 0
	ds_write_b64 v28, v[7:8] offset:2904
.LBB0_17:
	s_or_b64 exec, exec, s[4:5]
	v_lshlrev_b64 v[0:1], 3, v[0:1]
	v_mov_b32_e32 v5, s7
	v_add_co_u32_e32 v0, vcc, s6, v0
	v_addc_co_u32_e32 v1, vcc, v5, v1, vcc
	global_load_dwordx2 v[7:8], v[0:1], off offset:528
	global_load_dwordx2 v[9:10], v[0:1], off offset:1056
	;; [unrolled: 1-line block ×4, first 2 shown]
	ds_write_b64 v29, v[2:3]
	ds_read_b64 v[2:3], v29 offset:528
	ds_read_b64 v[20:21], v4 offset:5280
	v_cmp_gt_u32_e32 vcc, 33, v16
	s_waitcnt lgkmcnt(0)
	v_add_f32_e32 v5, v2, v20
	v_add_f32_e32 v15, v21, v3
	v_sub_f32_e32 v17, v2, v20
	v_sub_f32_e32 v20, v3, v21
	s_waitcnt vmcnt(3)
	v_fma_f32 v22, v17, v8, v5
	v_fma_f32 v21, v15, v8, v20
	v_fma_f32 v2, -v17, v8, v5
	v_fma_f32 v3, v15, v8, -v20
	v_fma_f32 v20, -v7, v15, v22
	v_fmac_f32_e32 v21, v17, v7
	v_fmac_f32_e32 v2, v7, v15
	v_fmac_f32_e32 v3, v17, v7
	ds_write_b64 v29, v[20:21] offset:528
	ds_write_b64 v4, v[2:3] offset:5280
	ds_read_b64 v[2:3], v29 offset:1056
	ds_read_b64 v[7:8], v4 offset:4752
	s_waitcnt lgkmcnt(0)
	v_add_f32_e32 v5, v2, v7
	v_add_f32_e32 v15, v8, v3
	v_sub_f32_e32 v17, v2, v7
	v_sub_f32_e32 v2, v3, v8
	s_waitcnt vmcnt(2)
	v_fma_f32 v20, v17, v10, v5
	v_fma_f32 v3, v15, v10, v2
	v_fma_f32 v7, -v17, v10, v5
	v_fma_f32 v8, v15, v10, -v2
	v_fma_f32 v2, -v9, v15, v20
	v_fmac_f32_e32 v3, v17, v9
	v_fmac_f32_e32 v7, v9, v15
	v_fmac_f32_e32 v8, v17, v9
	ds_write_b64 v29, v[2:3] offset:1056
	ds_write_b64 v4, v[7:8] offset:4752
	ds_read_b64 v[2:3], v29 offset:1584
	ds_read_b64 v[7:8], v4 offset:4224
	;; [unrolled: 18-line block ×3, first 2 shown]
	s_waitcnt lgkmcnt(0)
	v_add_f32_e32 v5, v2, v7
	v_add_f32_e32 v9, v8, v3
	v_sub_f32_e32 v10, v2, v7
	v_sub_f32_e32 v2, v3, v8
	s_waitcnt vmcnt(0)
	v_fma_f32 v11, v10, v14, v5
	v_fma_f32 v3, v9, v14, v2
	v_fma_f32 v7, -v10, v14, v5
	v_fma_f32 v8, v9, v14, -v2
	v_fma_f32 v2, -v13, v9, v11
	v_fmac_f32_e32 v3, v10, v13
	v_fmac_f32_e32 v7, v13, v9
	;; [unrolled: 1-line block ×3, first 2 shown]
	ds_write_b64 v29, v[2:3] offset:2112
	ds_write_b64 v4, v[7:8] offset:3696
	s_and_saveexec_b64 s[4:5], vcc
	s_cbranch_execz .LBB0_19
; %bb.18:
	global_load_dwordx2 v[0:1], v[0:1], off offset:2640
	ds_read_b64 v[2:3], v29 offset:2640
	ds_read_b64 v[7:8], v4 offset:3168
	s_waitcnt lgkmcnt(0)
	v_add_f32_e32 v5, v2, v7
	v_add_f32_e32 v9, v8, v3
	v_sub_f32_e32 v10, v2, v7
	v_sub_f32_e32 v3, v3, v8
	s_waitcnt vmcnt(0)
	v_fma_f32 v11, v10, v1, v5
	v_fma_f32 v2, v9, v1, v3
	v_fma_f32 v7, -v10, v1, v5
	v_fma_f32 v8, v9, v1, -v3
	v_fma_f32 v1, -v0, v9, v11
	v_fmac_f32_e32 v2, v10, v0
	v_fmac_f32_e32 v7, v0, v9
	;; [unrolled: 1-line block ×3, first 2 shown]
	ds_write_b64 v29, v[1:2] offset:2640
	ds_write_b64 v4, v[7:8] offset:3168
.LBB0_19:
	s_or_b64 exec, exec, s[4:5]
	v_add3_u32 v17, 0, v6, v30
	s_waitcnt lgkmcnt(0)
	s_barrier
	s_barrier
	ds_read_b64 v[4:5], v29
	ds_read2_b64 v[6:9], v17 offset0:66 offset1:132
	v_add_u32_e32 v0, 0x400, v17
	ds_read2_b64 v[20:23], v0 offset0:70 offset1:136
	v_add_u32_e32 v32, 0xc00, v17
	;; [unrolled: 2-line block ×3, first 2 shown]
	ds_read2_b64 v[0:3], v10 offset0:74 offset1:140
	s_waitcnt lgkmcnt(3)
	v_add_f32_e32 v11, v4, v6
	v_add_f32_e32 v12, v5, v7
	;; [unrolled: 1-line block ×4, first 2 shown]
	v_add_u32_e32 v31, 0x1000, v17
	s_waitcnt lgkmcnt(2)
	v_add_f32_e32 v11, v11, v20
	v_add_f32_e32 v12, v12, v21
	;; [unrolled: 1-line block ×4, first 2 shown]
	s_waitcnt lgkmcnt(1)
	v_add_f32_e32 v11, v26, v20
	v_add_f32_e32 v13, v27, v21
	v_sub_f32_e32 v12, v20, v26
	v_sub_f32_e32 v14, v21, v27
	v_add_f32_e32 v35, v24, v22
	v_add_f32_e32 v36, v25, v23
	v_sub_f32_e32 v37, v22, v24
	v_sub_f32_e32 v38, v23, v25
	ds_read2_b64 v[20:23], v31 offset0:82 offset1:148
	s_waitcnt lgkmcnt(1)
	v_add_f32_e32 v15, v15, v0
	v_add_f32_e32 v33, v33, v1
	;; [unrolled: 1-line block ×8, first 2 shown]
	s_waitcnt lgkmcnt(0)
	v_add_f32_e32 v26, v23, v7
	v_sub_f32_e32 v7, v7, v23
	v_add_f32_e32 v39, v20, v8
	v_add_f32_e32 v40, v21, v9
	v_sub_f32_e32 v41, v8, v20
	v_sub_f32_e32 v42, v9, v21
	v_add_f32_e32 v8, v15, v20
	v_add_f32_e32 v9, v24, v21
	v_mul_f32_e32 v15, 0xbf0a6770, v7
	v_add_f32_e32 v43, v2, v0
	v_sub_f32_e32 v45, v0, v2
	v_mul_f32_e32 v0, 0xbf68dda4, v7
	v_mul_f32_e32 v2, 0xbf7d64f0, v7
	;; [unrolled: 1-line block ×4, first 2 shown]
	v_add_f32_e32 v25, v22, v6
	v_sub_f32_e32 v6, v6, v22
	v_add_f32_e32 v8, v8, v22
	v_add_f32_e32 v9, v9, v23
	s_mov_b32 s4, 0x3f575c64
	v_mov_b32_e32 v20, v15
	v_add_f32_e32 v44, v3, v1
	v_sub_f32_e32 v46, v1, v3
	s_mov_b32 s5, 0x3ed4b147
	v_mov_b32_e32 v1, v0
	s_mov_b32 s6, 0xbe11bafb
	v_mov_b32_e32 v3, v2
	;; [unrolled: 2-line block ×4, first 2 shown]
	v_mul_f32_e32 v24, 0x3f575c64, v26
	v_fmac_f32_e32 v20, 0x3f575c64, v25
	v_fma_f32 v15, v25, s4, -v15
	v_fmac_f32_e32 v1, 0x3ed4b147, v25
	v_fma_f32 v0, v25, s5, -v0
	;; [unrolled: 2-line block ×5, first 2 shown]
	v_mov_b32_e32 v25, v24
	v_mul_f32_e32 v27, 0x3ed4b147, v26
	v_mul_f32_e32 v34, 0xbe11bafb, v26
	;; [unrolled: 1-line block ×4, first 2 shown]
	v_fmac_f32_e32 v25, 0x3f0a6770, v6
	v_mov_b32_e32 v33, v27
	v_mov_b32_e32 v47, v34
	;; [unrolled: 1-line block ×4, first 2 shown]
	v_add_f32_e32 v51, v4, v0
	v_mul_f32_e32 v0, 0xbf68dda4, v42
	v_fmac_f32_e32 v24, 0xbf0a6770, v6
	v_fmac_f32_e32 v33, 0x3f68dda4, v6
	;; [unrolled: 1-line block ×9, first 2 shown]
	v_add_f32_e32 v6, v4, v20
	v_add_f32_e32 v20, v5, v25
	;; [unrolled: 1-line block ×3, first 2 shown]
	v_mov_b32_e32 v1, v0
	v_fmac_f32_e32 v1, 0x3ed4b147, v39
	v_add_f32_e32 v1, v1, v6
	v_mul_f32_e32 v6, 0x3ed4b147, v40
	v_add_f32_e32 v15, v4, v15
	v_add_f32_e32 v52, v4, v3
	v_add_f32_e32 v53, v4, v2
	v_add_f32_e32 v54, v4, v22
	v_add_f32_e32 v55, v4, v21
	v_add_f32_e32 v56, v4, v23
	v_add_f32_e32 v4, v4, v7
	v_mov_b32_e32 v2, v6
	v_mul_f32_e32 v7, 0xbf7d64f0, v14
	v_fmac_f32_e32 v2, 0x3f68dda4, v41
	v_mov_b32_e32 v3, v7
	v_add_f32_e32 v2, v2, v20
	v_fmac_f32_e32 v3, 0xbe11bafb, v11
	v_mul_f32_e32 v20, 0xbe11bafb, v13
	v_add_f32_e32 v1, v3, v1
	v_mov_b32_e32 v3, v20
	v_fmac_f32_e32 v3, 0x3f7d64f0, v12
	v_mul_f32_e32 v21, 0xbf4178ce, v38
	v_add_f32_e32 v2, v3, v2
	v_mov_b32_e32 v3, v21
	;; [unrolled: 4-line block ×3, first 2 shown]
	v_fmac_f32_e32 v3, 0x3f4178ce, v37
	v_mul_f32_e32 v23, 0xbe903f40, v46
	v_add_f32_e32 v24, v5, v24
	v_add_f32_e32 v3, v3, v2
	v_mov_b32_e32 v2, v23
	v_fmac_f32_e32 v6, 0xbf68dda4, v41
	v_fmac_f32_e32 v2, 0xbf75a155, v43
	v_fma_f32 v0, v39, s5, -v0
	v_add_f32_e32 v6, v6, v24
	v_fmac_f32_e32 v20, 0xbf7d64f0, v12
	v_add_f32_e32 v2, v2, v1
	v_mul_f32_e32 v1, 0xbf75a155, v44
	v_add_f32_e32 v0, v0, v15
	v_fma_f32 v7, v11, s6, -v7
	v_add_f32_e32 v6, v20, v6
	v_fmac_f32_e32 v22, 0xbf4178ce, v37
	v_add_f32_e32 v33, v5, v33
	v_add_f32_e32 v27, v5, v27
	;; [unrolled: 1-line block ×8, first 2 shown]
	v_mov_b32_e32 v26, v1
	v_add_f32_e32 v0, v7, v0
	v_fma_f32 v7, v35, s7, -v21
	v_add_f32_e32 v6, v22, v6
	v_fmac_f32_e32 v1, 0xbe903f40, v45
	v_add_f32_e32 v0, v7, v0
	v_fma_f32 v7, v43, s10, -v23
	v_add_f32_e32 v1, v1, v6
	v_mul_f32_e32 v6, 0xbf4178ce, v42
	v_add_f32_e32 v0, v7, v0
	v_mov_b32_e32 v7, v6
	v_mul_f32_e32 v21, 0x3e903f40, v14
	v_fmac_f32_e32 v7, 0xbf27a4f4, v39
	v_mov_b32_e32 v22, v21
	v_add_f32_e32 v7, v7, v25
	v_mul_f32_e32 v15, 0xbf27a4f4, v40
	v_fmac_f32_e32 v22, 0xbf75a155, v11
	v_mov_b32_e32 v20, v15
	v_add_f32_e32 v7, v22, v7
	;; [unrolled: 4-line block ×3, first 2 shown]
	v_fmac_f32_e32 v23, 0xbe903f40, v12
	v_add_f32_e32 v20, v23, v20
	v_mul_f32_e32 v23, 0x3f7d64f0, v38
	v_fmac_f32_e32 v26, 0x3e903f40, v45
	v_mov_b32_e32 v24, v23
	v_add_f32_e32 v3, v26, v3
	v_fmac_f32_e32 v24, 0xbe11bafb, v35
	v_mul_f32_e32 v26, 0xbe11bafb, v36
	v_add_f32_e32 v7, v24, v7
	v_mov_b32_e32 v24, v26
	v_fmac_f32_e32 v24, 0xbf7d64f0, v37
	v_mul_f32_e32 v33, 0x3f0a6770, v46
	v_add_f32_e32 v20, v24, v20
	v_mov_b32_e32 v24, v33
	v_fmac_f32_e32 v24, 0x3f575c64, v43
	v_add_f32_e32 v24, v24, v7
	v_mul_f32_e32 v7, 0x3f575c64, v44
	v_mov_b32_e32 v25, v7
	v_fmac_f32_e32 v25, 0xbf0a6770, v45
	v_fma_f32 v6, v39, s7, -v6
	v_add_f32_e32 v25, v25, v20
	v_add_f32_e32 v6, v6, v51
	v_fmac_f32_e32 v15, 0xbf4178ce, v41
	v_fma_f32 v20, v11, s10, -v21
	v_add_f32_e32 v15, v15, v27
	v_add_f32_e32 v6, v20, v6
	;; [unrolled: 4-line block ×4, first 2 shown]
	v_fmac_f32_e32 v7, 0x3f0a6770, v45
	v_mul_f32_e32 v6, 0x3e903f40, v42
	v_add_f32_e32 v21, v7, v15
	v_mov_b32_e32 v7, v6
	v_mul_f32_e32 v23, 0x3f68dda4, v14
	v_fmac_f32_e32 v7, 0xbf75a155, v39
	v_mul_f32_e32 v15, 0xbf75a155, v40
	v_mov_b32_e32 v26, v23
	v_add_f32_e32 v7, v7, v52
	v_mov_b32_e32 v22, v15
	v_fmac_f32_e32 v26, 0x3ed4b147, v11
	v_mul_f32_e32 v33, 0x3ed4b147, v13
	v_fmac_f32_e32 v22, 0xbe903f40, v41
	v_add_f32_e32 v7, v26, v7
	v_mov_b32_e32 v26, v33
	v_add_f32_e32 v22, v22, v47
	v_fmac_f32_e32 v26, 0xbf68dda4, v12
	v_mul_f32_e32 v47, 0xbf0a6770, v38
	v_add_f32_e32 v22, v26, v22
	v_mov_b32_e32 v26, v47
	v_fmac_f32_e32 v26, 0x3f575c64, v35
	v_mul_f32_e32 v51, 0x3f575c64, v36
	v_add_f32_e32 v7, v26, v7
	v_mov_b32_e32 v26, v51
	;; [unrolled: 4-line block ×3, first 2 shown]
	v_fmac_f32_e32 v26, 0xbf27a4f4, v43
	v_add_f32_e32 v26, v26, v7
	v_mul_f32_e32 v7, 0xbf27a4f4, v44
	v_mov_b32_e32 v27, v7
	v_fmac_f32_e32 v27, 0x3f4178ce, v45
	v_fma_f32 v6, v39, s10, -v6
	v_fmac_f32_e32 v15, 0x3e903f40, v41
	v_add_f32_e32 v27, v27, v22
	v_add_f32_e32 v6, v6, v53
	;; [unrolled: 1-line block ×3, first 2 shown]
	v_fma_f32 v22, v11, s5, -v23
	v_fmac_f32_e32 v33, 0x3f68dda4, v12
	v_add_f32_e32 v6, v22, v6
	v_add_f32_e32 v15, v33, v15
	v_fma_f32 v22, v35, s4, -v47
	v_fmac_f32_e32 v51, 0xbf0a6770, v37
	v_add_f32_e32 v6, v22, v6
	v_add_f32_e32 v15, v51, v15
	;; [unrolled: 4-line block ×3, first 2 shown]
	v_mul_f32_e32 v6, 0x3f7d64f0, v42
	v_mul_f32_e32 v15, 0xbe11bafb, v40
	v_mov_b32_e32 v7, v6
	v_mov_b32_e32 v33, v15
	v_mul_f32_e32 v47, 0xbf0a6770, v14
	v_fmac_f32_e32 v7, 0xbe11bafb, v39
	v_fmac_f32_e32 v33, 0xbf7d64f0, v41
	v_mov_b32_e32 v34, v47
	v_add_f32_e32 v7, v7, v54
	v_add_f32_e32 v33, v33, v49
	v_fmac_f32_e32 v34, 0x3f575c64, v11
	v_mul_f32_e32 v49, 0x3f575c64, v13
	v_add_f32_e32 v7, v34, v7
	v_mov_b32_e32 v34, v49
	v_fmac_f32_e32 v34, 0x3f0a6770, v12
	v_mul_f32_e32 v51, 0xbe903f40, v38
	v_add_f32_e32 v33, v34, v33
	v_mov_b32_e32 v34, v51
	;; [unrolled: 4-line block ×4, first 2 shown]
	v_fmac_f32_e32 v15, 0x3f7d64f0, v41
	v_fmac_f32_e32 v33, 0x3ed4b147, v43
	v_add_f32_e32 v15, v15, v48
	v_fmac_f32_e32 v49, 0xbf0a6770, v12
	v_add_f32_e32 v33, v33, v7
	v_mul_f32_e32 v7, 0x3ed4b147, v44
	v_add_f32_e32 v15, v49, v15
	v_fmac_f32_e32 v52, 0xbe903f40, v37
	v_mov_b32_e32 v54, v7
	v_add_f32_e32 v15, v52, v15
	v_fmac_f32_e32 v7, 0x3f68dda4, v45
	v_fma_f32 v6, v39, s6, -v6
	v_add_f32_e32 v7, v7, v15
	v_mul_f32_e32 v15, 0x3f0a6770, v42
	v_add_f32_e32 v6, v6, v55
	v_fma_f32 v47, v11, s4, -v47
	v_mov_b32_e32 v42, v15
	v_mul_f32_e32 v48, 0xbf4178ce, v14
	v_add_f32_e32 v6, v47, v6
	v_fma_f32 v47, v35, s10, -v51
	v_fmac_f32_e32 v42, 0x3f575c64, v39
	v_mov_b32_e32 v14, v48
	v_add_f32_e32 v6, v47, v6
	v_fma_f32 v47, v43, s5, -v53
	v_add_f32_e32 v42, v42, v56
	v_mul_f32_e32 v40, 0x3f575c64, v40
	v_fmac_f32_e32 v14, 0xbf27a4f4, v11
	v_add_f32_e32 v6, v47, v6
	v_mov_b32_e32 v47, v40
	v_add_f32_e32 v14, v14, v42
	v_mul_f32_e32 v42, 0xbf27a4f4, v13
	v_fmac_f32_e32 v47, 0xbf0a6770, v41
	v_mov_b32_e32 v13, v42
	v_add_f32_e32 v47, v47, v50
	v_fmac_f32_e32 v13, 0x3f4178ce, v12
	v_mul_f32_e32 v38, 0x3f68dda4, v38
	v_add_f32_e32 v13, v13, v47
	v_mov_b32_e32 v47, v38
	v_fmac_f32_e32 v47, 0x3ed4b147, v35
	v_mul_f32_e32 v36, 0x3ed4b147, v36
	v_add_f32_e32 v14, v47, v14
	v_mov_b32_e32 v47, v36
	;; [unrolled: 4-line block ×3, first 2 shown]
	v_fma_f32 v15, v39, s4, -v15
	v_fmac_f32_e32 v13, 0xbe11bafb, v43
	v_mul_f32_e32 v44, 0xbe11bafb, v44
	v_add_f32_e32 v4, v15, v4
	v_fmac_f32_e32 v40, 0x3f0a6770, v41
	v_fma_f32 v11, v11, s7, -v48
	v_add_f32_e32 v13, v13, v14
	v_mov_b32_e32 v14, v44
	v_add_f32_e32 v5, v40, v5
	v_add_f32_e32 v4, v11, v4
	v_fmac_f32_e32 v42, 0xbf4178ce, v12
	v_fma_f32 v11, v35, s5, -v38
	v_fmac_f32_e32 v14, 0x3f7d64f0, v45
	v_add_f32_e32 v5, v42, v5
	v_add_f32_e32 v4, v11, v4
	v_fmac_f32_e32 v36, 0x3f68dda4, v37
	v_fma_f32 v11, v43, s6, -v46
	s_movk_i32 s4, 0x50
	v_fmac_f32_e32 v54, 0xbf68dda4, v45
	v_add_f32_e32 v14, v14, v47
	v_add_f32_e32 v5, v36, v5
	;; [unrolled: 1-line block ×3, first 2 shown]
	v_fmac_f32_e32 v44, 0xbf7d64f0, v45
	v_mad_u32_u24 v11, v16, s4, v17
	v_add_f32_e32 v34, v54, v34
	v_add_f32_e32 v5, v44, v5
	s_barrier
	ds_write2_b64 v11, v[8:9], v[2:3] offset1:1
	ds_write2_b64 v11, v[24:25], v[26:27] offset0:2 offset1:3
	ds_write2_b64 v11, v[33:34], v[13:14] offset0:4 offset1:5
	;; [unrolled: 1-line block ×4, first 2 shown]
	ds_write_b64 v11, v[0:1] offset:80
	s_waitcnt lgkmcnt(0)
	s_barrier
	ds_read2_b64 v[12:15], v17 offset0:121 offset1:242
	ds_read2_b64 v[8:11], v10 offset0:107 offset1:228
	ds_read_b64 v[24:25], v29
	ds_read_b64 v[26:27], v17 offset:4840
	v_cmp_gt_u32_e32 vcc, 55, v16
	s_and_saveexec_b64 s[4:5], vcc
	s_cbranch_execz .LBB0_21
; %bb.20:
	ds_read2_b64 v[4:7], v17 offset0:66 offset1:187
	ds_read_b64 v[22:23], v17 offset:2464
	ds_read2_b32 v[20:21], v32 offset0:90 offset1:91
	ds_read2_b64 v[0:3], v31 offset0:38 offset1:159
.LBB0_21:
	s_or_b64 exec, exec, s[4:5]
	s_movk_i32 s6, 0x75
	v_mul_lo_u16_sdwa v31, v16, s6 dst_sel:DWORD dst_unused:UNUSED_PAD src0_sel:BYTE_0 src1_sel:DWORD
	v_sub_u16_sdwa v32, v16, v31 dst_sel:DWORD dst_unused:UNUSED_PAD src0_sel:DWORD src1_sel:BYTE_1
	v_lshrrev_b16_e32 v32, 1, v32
	v_and_b32_e32 v32, 0x7f, v32
	v_add_u16_sdwa v31, v32, v31 dst_sel:DWORD dst_unused:UNUSED_PAD src0_sel:DWORD src1_sel:BYTE_1
	v_lshrrev_b16_e32 v43, 3, v31
	v_mul_lo_u16_e32 v31, 11, v43
	v_sub_u16_e32 v44, v16, v31
	v_mov_b32_e32 v31, 5
	v_mul_u32_u24_sdwa v32, v44, v31 dst_sel:DWORD dst_unused:UNUSED_PAD src0_sel:BYTE_0 src1_sel:DWORD
	v_lshlrev_b32_e32 v32, 3, v32
	global_load_dwordx4 v[33:36], v32, s[8:9]
	global_load_dwordx4 v[37:40], v32, s[8:9] offset:16
	global_load_dwordx2 v[41:42], v32, s[8:9] offset:32
	s_movk_i32 s7, 0x210
	v_mov_b32_e32 v32, 3
	v_mad_u32_u24 v43, v43, s7, 0
	v_lshlrev_b32_sdwa v44, v32, v44 dst_sel:DWORD dst_unused:UNUSED_PAD src0_sel:DWORD src1_sel:BYTE_0
	v_add3_u32 v43, v43, v44, v30
	s_waitcnt vmcnt(0) lgkmcnt(0)
	s_barrier
	v_mul_f32_e32 v44, v34, v13
	v_mul_f32_e32 v34, v34, v12
	;; [unrolled: 1-line block ×10, first 2 shown]
	v_fmac_f32_e32 v44, v33, v12
	v_fma_f32 v12, v33, v13, -v34
	v_fmac_f32_e32 v45, v35, v14
	v_fmac_f32_e32 v46, v37, v8
	v_fma_f32 v8, v37, v9, -v38
	v_fmac_f32_e32 v47, v39, v10
	v_fma_f32 v10, v41, v27, -v42
	v_fma_f32 v13, v35, v15, -v36
	;; [unrolled: 1-line block ×3, first 2 shown]
	v_fmac_f32_e32 v48, v41, v26
	v_add_f32_e32 v14, v45, v47
	v_sub_f32_e32 v35, v8, v10
	v_add_f32_e32 v36, v12, v8
	v_add_f32_e32 v8, v8, v10
	;; [unrolled: 1-line block ×3, first 2 shown]
	v_sub_f32_e32 v15, v13, v9
	v_add_f32_e32 v26, v25, v13
	v_add_f32_e32 v13, v13, v9
	;; [unrolled: 1-line block ×4, first 2 shown]
	v_sub_f32_e32 v37, v46, v48
	v_fma_f32 v14, -0.5, v14, v24
	v_fmac_f32_e32 v12, -0.5, v8
	v_add_f32_e32 v11, v11, v47
	v_add_f32_e32 v24, v26, v9
	v_fmac_f32_e32 v25, -0.5, v13
	v_add_f32_e32 v13, v33, v48
	v_fmac_f32_e32 v44, -0.5, v34
	v_add_f32_e32 v26, v36, v10
	v_mov_b32_e32 v33, v14
	v_mov_b32_e32 v38, v12
	v_fmac_f32_e32 v12, 0xbf5db3d7, v37
	v_sub_f32_e32 v27, v45, v47
	v_fmac_f32_e32 v14, 0x3f5db3d7, v15
	v_mov_b32_e32 v34, v25
	v_mov_b32_e32 v36, v44
	v_fmac_f32_e32 v44, 0x3f5db3d7, v35
	v_add_f32_e32 v8, v11, v13
	v_add_f32_e32 v9, v24, v26
	v_sub_f32_e32 v10, v11, v13
	v_sub_f32_e32 v11, v24, v26
	v_fmac_f32_e32 v33, 0xbf5db3d7, v15
	v_fmac_f32_e32 v38, 0x3f5db3d7, v37
	v_mul_f32_e32 v15, 0xbf5db3d7, v12
	v_mul_f32_e32 v24, -0.5, v12
	v_fmac_f32_e32 v25, 0xbf5db3d7, v27
	v_fmac_f32_e32 v34, 0x3f5db3d7, v27
	;; [unrolled: 1-line block ×3, first 2 shown]
	v_mul_f32_e32 v26, 0xbf5db3d7, v38
	v_fmac_f32_e32 v15, -0.5, v44
	v_mul_f32_e32 v27, 0.5, v38
	v_fmac_f32_e32 v24, 0x3f5db3d7, v44
	v_fmac_f32_e32 v26, 0.5, v36
	v_add_f32_e32 v12, v14, v15
	v_fmac_f32_e32 v27, 0x3f5db3d7, v36
	v_add_f32_e32 v13, v25, v24
	v_sub_f32_e32 v14, v14, v15
	v_sub_f32_e32 v15, v25, v24
	v_add_f32_e32 v24, v33, v26
	v_add_f32_e32 v25, v34, v27
	v_sub_f32_e32 v26, v33, v26
	v_sub_f32_e32 v27, v34, v27
	ds_write2_b64 v43, v[12:13], v[10:11] offset0:22 offset1:33
	ds_write2_b64 v43, v[8:9], v[24:25] offset1:11
	ds_write2_b64 v43, v[26:27], v[14:15] offset0:44 offset1:55
	s_and_saveexec_b64 s[4:5], vcc
	s_cbranch_execz .LBB0_23
; %bb.22:
	v_add_u16_e32 v8, 0x42, v16
	v_mul_lo_u16_sdwa v9, v8, s6 dst_sel:DWORD dst_unused:UNUSED_PAD src0_sel:BYTE_0 src1_sel:DWORD
	v_sub_u16_sdwa v10, v8, v9 dst_sel:DWORD dst_unused:UNUSED_PAD src0_sel:DWORD src1_sel:BYTE_1
	v_lshrrev_b16_e32 v10, 1, v10
	v_and_b32_e32 v10, 0x7f, v10
	v_add_u16_sdwa v9, v10, v9 dst_sel:DWORD dst_unused:UNUSED_PAD src0_sel:DWORD src1_sel:BYTE_1
	v_lshrrev_b16_e32 v26, 3, v9
	v_mul_lo_u16_e32 v9, 11, v26
	v_sub_u16_e32 v27, v8, v9
	v_mul_u32_u24_sdwa v8, v27, v31 dst_sel:DWORD dst_unused:UNUSED_PAD src0_sel:BYTE_0 src1_sel:DWORD
	v_lshlrev_b32_e32 v31, 3, v8
	global_load_dwordx4 v[8:11], v31, s[8:9]
	global_load_dwordx4 v[12:15], v31, s[8:9] offset:16
	global_load_dwordx2 v[24:25], v31, s[8:9] offset:32
	v_mad_u32_u24 v26, v26, s7, 0
	v_lshlrev_b32_sdwa v27, v32, v27 dst_sel:DWORD dst_unused:UNUSED_PAD src0_sel:DWORD src1_sel:BYTE_0
	v_add3_u32 v26, v26, v27, v30
	s_waitcnt vmcnt(2)
	v_mul_f32_e32 v27, v22, v11
	s_waitcnt vmcnt(1)
	v_mul_f32_e32 v30, v0, v15
	v_mul_f32_e32 v15, v1, v15
	;; [unrolled: 1-line block ×3, first 2 shown]
	s_waitcnt vmcnt(0)
	v_mul_f32_e32 v33, v3, v25
	v_mul_f32_e32 v13, v20, v13
	;; [unrolled: 1-line block ×6, first 2 shown]
	v_fma_f32 v23, v23, v10, -v27
	v_fma_f32 v1, v1, v14, -v30
	v_fmac_f32_e32 v15, v0, v14
	v_fmac_f32_e32 v32, v20, v12
	;; [unrolled: 1-line block ×3, first 2 shown]
	v_fma_f32 v0, v21, v12, -v13
	v_fma_f32 v2, v3, v24, -v25
	v_fmac_f32_e32 v11, v22, v10
	v_fmac_f32_e32 v31, v6, v8
	v_fma_f32 v3, v7, v8, -v9
	v_add_f32_e32 v6, v23, v1
	v_add_f32_e32 v8, v32, v33
	;; [unrolled: 1-line block ×3, first 2 shown]
	v_sub_f32_e32 v7, v11, v15
	v_sub_f32_e32 v12, v32, v33
	v_add_f32_e32 v13, v5, v23
	v_add_f32_e32 v14, v11, v15
	;; [unrolled: 1-line block ×3, first 2 shown]
	v_fma_f32 v6, -0.5, v6, v5
	v_fma_f32 v5, -0.5, v8, v31
	;; [unrolled: 1-line block ×3, first 2 shown]
	v_sub_f32_e32 v9, v0, v2
	v_add_f32_e32 v0, v3, v0
	v_add_f32_e32 v21, v31, v32
	;; [unrolled: 1-line block ×3, first 2 shown]
	v_fma_f32 v10, -0.5, v14, v4
	v_add_f32_e32 v4, v11, v15
	v_mov_b32_e32 v13, v6
	v_mov_b32_e32 v15, v8
	v_fmac_f32_e32 v8, 0x3f5db3d7, v12
	v_sub_f32_e32 v20, v23, v1
	v_add_f32_e32 v2, v0, v2
	v_add_f32_e32 v11, v21, v33
	v_mov_b32_e32 v14, v5
	v_fmac_f32_e32 v6, 0x3f5db3d7, v7
	v_fmac_f32_e32 v5, 0xbf5db3d7, v9
	;; [unrolled: 1-line block ×4, first 2 shown]
	v_mul_f32_e32 v7, 0.5, v8
	v_mul_f32_e32 v8, 0xbf5db3d7, v8
	v_sub_f32_e32 v1, v3, v2
	v_mov_b32_e32 v21, v10
	v_fmac_f32_e32 v10, 0xbf5db3d7, v20
	v_sub_f32_e32 v0, v4, v11
	v_add_f32_e32 v3, v3, v2
	v_add_f32_e32 v2, v4, v11
	v_fmac_f32_e32 v14, 0x3f5db3d7, v9
	v_mul_f32_e32 v11, -0.5, v15
	v_fmac_f32_e32 v7, 0x3f5db3d7, v5
	v_mul_f32_e32 v12, 0xbf5db3d7, v15
	v_fmac_f32_e32 v8, 0.5, v5
	v_fmac_f32_e32 v21, 0x3f5db3d7, v20
	v_fmac_f32_e32 v11, 0x3f5db3d7, v14
	v_sub_f32_e32 v5, v6, v7
	v_fmac_f32_e32 v12, -0.5, v14
	v_add_f32_e32 v7, v6, v7
	v_add_f32_e32 v6, v10, v8
	v_sub_f32_e32 v4, v10, v8
	v_sub_f32_e32 v9, v13, v11
	v_sub_f32_e32 v8, v21, v12
	v_add_f32_e32 v11, v13, v11
	v_add_f32_e32 v10, v21, v12
	ds_write2_b64 v26, v[2:3], v[6:7] offset1:11
	ds_write2_b64 v26, v[10:11], v[0:1] offset0:22 offset1:33
	ds_write2_b64 v26, v[4:5], v[8:9] offset0:44 offset1:55
.LBB0_23:
	s_or_b64 exec, exec, s[4:5]
	v_mul_u32_u24_e32 v0, 10, v16
	v_lshlrev_b32_e32 v24, 3, v0
	s_waitcnt lgkmcnt(0)
	s_barrier
	global_load_dwordx4 v[0:3], v24, s[8:9] offset:440
	global_load_dwordx4 v[4:7], v24, s[8:9] offset:456
	global_load_dwordx4 v[8:11], v24, s[8:9] offset:472
	global_load_dwordx4 v[12:15], v24, s[8:9] offset:488
	global_load_dwordx4 v[20:23], v24, s[8:9] offset:504
	ds_read2_b64 v[24:27], v17 offset0:66 offset1:132
	v_add_u32_e32 v30, 0x400, v17
	ds_read_b64 v[41:42], v29
	ds_read_b64 v[43:44], v17 offset:5280
	v_add_u32_e32 v47, 0x800, v17
	v_add_u32_e32 v48, 0x1000, v17
	ds_read2_b64 v[29:32], v30 offset0:70 offset1:136
	ds_read2_b32 v[45:46], v47 offset0:148 offset1:149
	ds_read2_b64 v[33:36], v47 offset0:140 offset1:206
	ds_read2_b64 v[37:40], v48 offset0:16 offset1:82
	s_mov_b32 s4, 0x3f575c64
	s_mov_b32 s5, 0x3ed4b147
	;; [unrolled: 1-line block ×5, first 2 shown]
	s_waitcnt vmcnt(0) lgkmcnt(0)
	s_barrier
	v_mul_f32_e32 v49, v1, v25
	v_mul_f32_e32 v1, v1, v24
	;; [unrolled: 1-line block ×13, first 2 shown]
	v_fmac_f32_e32 v49, v0, v24
	v_fma_f32 v0, v0, v25, -v1
	v_mul_f32_e32 v1, v35, v13
	v_mul_f32_e32 v24, v44, v23
	;; [unrolled: 1-line block ×3, first 2 shown]
	v_fmac_f32_e32 v50, v2, v26
	v_fma_f32 v2, v2, v27, -v3
	v_mul_f32_e32 v3, v38, v15
	v_mul_f32_e32 v13, v37, v15
	;; [unrolled: 1-line block ×4, first 2 shown]
	v_fmac_f32_e32 v51, v4, v29
	v_fma_f32 v4, v4, v30, -v5
	v_fmac_f32_e32 v52, v6, v31
	v_fma_f32 v5, v6, v32, -v7
	;; [unrolled: 2-line block ×3, first 2 shown]
	v_fma_f32 v7, v34, v10, -v11
	v_fmac_f32_e32 v55, v35, v12
	v_fma_f32 v8, v36, v12, -v1
	v_fma_f32 v1, v44, v22, -v23
	v_add_f32_e32 v11, v49, v41
	v_add_f32_e32 v12, v0, v42
	v_fmac_f32_e32 v54, v33, v10
	v_fmac_f32_e32 v3, v37, v14
	v_fma_f32 v9, v38, v14, -v13
	v_fma_f32 v10, v40, v20, -v21
	v_add_f32_e32 v14, v0, v1
	v_sub_f32_e32 v21, v0, v1
	v_add_f32_e32 v0, v11, v50
	v_add_f32_e32 v11, v12, v2
	;; [unrolled: 1-line block ×9, first 2 shown]
	v_fmac_f32_e32 v24, v43, v22
	v_add_f32_e32 v0, v0, v54
	v_add_f32_e32 v11, v11, v8
	v_fmac_f32_e32 v15, v39, v20
	v_add_f32_e32 v13, v49, v24
	v_sub_f32_e32 v20, v49, v24
	v_mul_f32_e32 v12, 0xbf0a6770, v21
	v_mul_f32_e32 v22, 0x3f575c64, v14
	v_add_f32_e32 v0, v0, v55
	v_add_f32_e32 v11, v11, v9
	v_mov_b32_e32 v23, v12
	v_mov_b32_e32 v25, v22
	v_fma_f32 v12, v13, s4, -v12
	v_add_f32_e32 v0, v0, v3
	v_add_f32_e32 v11, v11, v10
	v_fmac_f32_e32 v22, 0xbf0a6770, v20
	v_add_f32_e32 v0, v0, v15
	v_add_f32_e32 v1, v11, v1
	;; [unrolled: 1-line block ×4, first 2 shown]
	v_mul_f32_e32 v22, 0xbf68dda4, v21
	v_mul_f32_e32 v29, 0xbf7d64f0, v21
	;; [unrolled: 1-line block ×4, first 2 shown]
	v_add_f32_e32 v0, v0, v24
	v_mov_b32_e32 v24, v22
	v_mov_b32_e32 v30, v29
	;; [unrolled: 1-line block ×4, first 2 shown]
	v_fmac_f32_e32 v23, 0x3f575c64, v13
	v_fmac_f32_e32 v24, 0x3ed4b147, v13
	v_mul_f32_e32 v26, 0x3ed4b147, v14
	v_fma_f32 v22, v13, s5, -v22
	v_fmac_f32_e32 v30, 0xbe11bafb, v13
	v_mul_f32_e32 v31, 0xbe11bafb, v14
	v_fma_f32 v29, v13, s6, -v29
	;; [unrolled: 3-line block ×4, first 2 shown]
	v_add_f32_e32 v21, v2, v10
	v_sub_f32_e32 v2, v2, v10
	v_mov_b32_e32 v27, v26
	v_mov_b32_e32 v32, v31
	;; [unrolled: 1-line block ×4, first 2 shown]
	v_mul_f32_e32 v10, 0xbf68dda4, v2
	v_fmac_f32_e32 v25, 0x3f0a6770, v20
	v_fmac_f32_e32 v27, 0x3f68dda4, v20
	;; [unrolled: 1-line block ×9, first 2 shown]
	v_add_f32_e32 v20, v50, v15
	v_mov_b32_e32 v39, v10
	v_add_f32_e32 v23, v23, v41
	v_fmac_f32_e32 v39, 0x3ed4b147, v20
	v_sub_f32_e32 v15, v50, v15
	v_add_f32_e32 v23, v39, v23
	v_mul_f32_e32 v39, 0x3ed4b147, v21
	v_mov_b32_e32 v40, v39
	v_fma_f32 v10, v20, s5, -v10
	v_fmac_f32_e32 v39, 0xbf68dda4, v15
	v_add_f32_e32 v10, v10, v11
	v_add_f32_e32 v11, v39, v12
	v_mul_f32_e32 v12, 0xbf4178ce, v2
	v_mov_b32_e32 v39, v12
	v_add_f32_e32 v24, v24, v41
	v_fmac_f32_e32 v39, 0xbf27a4f4, v20
	v_add_f32_e32 v25, v25, v42
	v_fmac_f32_e32 v40, 0x3f68dda4, v15
	v_add_f32_e32 v24, v39, v24
	v_mul_f32_e32 v39, 0xbf27a4f4, v21
	v_add_f32_e32 v22, v22, v41
	v_add_f32_e32 v26, v26, v42
	v_add_f32_e32 v25, v40, v25
	v_mov_b32_e32 v40, v39
	v_fma_f32 v12, v20, s7, -v12
	v_fmac_f32_e32 v39, 0xbf4178ce, v15
	v_add_f32_e32 v12, v12, v22
	v_add_f32_e32 v22, v39, v26
	v_mul_f32_e32 v26, 0x3e903f40, v2
	v_mov_b32_e32 v39, v26
	v_add_f32_e32 v30, v30, v41
	v_fmac_f32_e32 v39, 0xbf75a155, v20
	v_add_f32_e32 v27, v27, v42
	v_fmac_f32_e32 v40, 0x3f4178ce, v15
	v_add_f32_e32 v30, v39, v30
	v_mul_f32_e32 v39, 0xbf75a155, v21
	v_add_f32_e32 v29, v29, v41
	v_add_f32_e32 v31, v31, v42
	v_add_f32_e32 v27, v40, v27
	;; [unrolled: 16-line block ×3, first 2 shown]
	v_mov_b32_e32 v40, v39
	v_fma_f32 v31, v20, s6, -v31
	v_fmac_f32_e32 v39, 0x3f7d64f0, v15
	v_mul_f32_e32 v2, 0x3f0a6770, v2
	v_add_f32_e32 v31, v31, v33
	v_add_f32_e32 v33, v39, v35
	v_mov_b32_e32 v35, v2
	v_add_f32_e32 v37, v37, v41
	v_fmac_f32_e32 v35, 0x3f575c64, v20
	v_mul_f32_e32 v21, 0x3f575c64, v21
	v_add_f32_e32 v35, v35, v37
	v_mov_b32_e32 v37, v21
	v_fmac_f32_e32 v40, 0xbf7d64f0, v15
	v_fmac_f32_e32 v37, 0xbf0a6770, v15
	v_fmac_f32_e32 v21, 0x3f0a6770, v15
	v_add_f32_e32 v15, v4, v9
	v_sub_f32_e32 v4, v4, v9
	v_add_f32_e32 v13, v13, v41
	v_add_f32_e32 v14, v14, v42
	v_fma_f32 v2, v20, s4, -v2
	v_mul_f32_e32 v9, 0xbf7d64f0, v4
	v_add_f32_e32 v2, v2, v13
	v_add_f32_e32 v13, v21, v14
	;; [unrolled: 1-line block ×3, first 2 shown]
	v_mov_b32_e32 v20, v9
	v_sub_f32_e32 v3, v51, v3
	v_fmac_f32_e32 v20, 0xbe11bafb, v14
	v_mul_f32_e32 v21, 0xbe11bafb, v15
	v_add_f32_e32 v20, v20, v23
	v_mov_b32_e32 v23, v21
	v_fma_f32 v9, v14, s6, -v9
	v_fmac_f32_e32 v21, 0xbf7d64f0, v3
	v_add_f32_e32 v9, v9, v10
	v_add_f32_e32 v10, v21, v11
	v_mul_f32_e32 v11, 0x3e903f40, v4
	v_mov_b32_e32 v21, v11
	v_fmac_f32_e32 v21, 0xbf75a155, v14
	v_fmac_f32_e32 v23, 0x3f7d64f0, v3
	v_add_f32_e32 v21, v21, v24
	v_mul_f32_e32 v24, 0xbf75a155, v15
	v_add_f32_e32 v23, v23, v25
	v_mov_b32_e32 v25, v24
	v_fma_f32 v11, v14, s8, -v11
	v_fmac_f32_e32 v24, 0x3e903f40, v3
	v_add_f32_e32 v11, v11, v12
	v_add_f32_e32 v12, v24, v22
	v_mul_f32_e32 v22, 0x3f68dda4, v4
	v_fmac_f32_e32 v25, 0xbe903f40, v3
	v_mov_b32_e32 v24, v22
	v_add_f32_e32 v25, v25, v27
	v_fmac_f32_e32 v24, 0x3ed4b147, v14
	v_mul_f32_e32 v27, 0x3ed4b147, v15
	v_add_f32_e32 v24, v24, v30
	v_mov_b32_e32 v30, v27
	v_fma_f32 v22, v14, s5, -v22
	v_fmac_f32_e32 v27, 0x3f68dda4, v3
	v_add_f32_e32 v22, v22, v26
	v_add_f32_e32 v26, v27, v29
	v_mul_f32_e32 v27, 0xbf0a6770, v4
	v_fmac_f32_e32 v30, 0xbf68dda4, v3
	v_mov_b32_e32 v29, v27
	v_add_f32_e32 v30, v30, v32
	v_fmac_f32_e32 v29, 0x3f575c64, v14
	v_mul_f32_e32 v32, 0x3f575c64, v15
	v_add_f32_e32 v29, v29, v34
	v_mov_b32_e32 v34, v32
	v_fma_f32 v27, v14, s4, -v27
	v_fmac_f32_e32 v32, 0xbf0a6770, v3
	v_mul_f32_e32 v15, 0xbf27a4f4, v15
	v_add_f32_e32 v27, v27, v31
	v_add_f32_e32 v31, v32, v33
	v_mov_b32_e32 v33, v15
	v_fmac_f32_e32 v15, 0xbf4178ce, v3
	v_fmac_f32_e32 v34, 0x3f0a6770, v3
	v_mul_f32_e32 v4, 0xbf4178ce, v4
	v_fmac_f32_e32 v33, 0x3f4178ce, v3
	v_add_f32_e32 v3, v15, v13
	v_add_f32_e32 v13, v5, v8
	v_sub_f32_e32 v5, v5, v8
	v_mov_b32_e32 v32, v4
	v_fma_f32 v4, v14, s7, -v4
	v_mul_f32_e32 v8, 0xbf4178ce, v5
	v_add_f32_e32 v2, v4, v2
	v_add_f32_e32 v4, v52, v55
	v_mov_b32_e32 v15, v8
	v_fmac_f32_e32 v15, 0xbf27a4f4, v4
	v_fmac_f32_e32 v32, 0xbf27a4f4, v14
	v_sub_f32_e32 v14, v52, v55
	v_add_f32_e32 v15, v15, v20
	v_mul_f32_e32 v20, 0xbf27a4f4, v13
	v_add_f32_e32 v32, v32, v35
	v_mov_b32_e32 v35, v20
	v_fma_f32 v8, v4, s7, -v8
	v_fmac_f32_e32 v20, 0xbf4178ce, v14
	v_add_f32_e32 v8, v8, v9
	v_add_f32_e32 v9, v20, v10
	v_mul_f32_e32 v10, 0x3f7d64f0, v5
	v_mov_b32_e32 v20, v10
	v_fmac_f32_e32 v20, 0xbe11bafb, v4
	v_fmac_f32_e32 v35, 0x3f4178ce, v14
	v_add_f32_e32 v20, v20, v21
	v_mul_f32_e32 v21, 0xbe11bafb, v13
	v_add_f32_e32 v23, v35, v23
	v_mov_b32_e32 v35, v21
	v_fma_f32 v10, v4, s6, -v10
	v_fmac_f32_e32 v21, 0x3f7d64f0, v14
	v_add_f32_e32 v10, v10, v11
	v_add_f32_e32 v11, v21, v12
	v_mul_f32_e32 v12, 0xbf0a6770, v5
	v_mov_b32_e32 v21, v12
	v_fmac_f32_e32 v21, 0x3f575c64, v4
	v_fmac_f32_e32 v35, 0xbf7d64f0, v14
	;; [unrolled: 12-line block ×3, first 2 shown]
	v_add_f32_e32 v26, v26, v29
	v_mul_f32_e32 v29, 0xbf75a155, v13
	v_add_f32_e32 v36, v36, v42
	v_add_f32_e32 v30, v35, v30
	v_mov_b32_e32 v35, v29
	v_fma_f32 v24, v4, s8, -v24
	v_fmac_f32_e32 v29, 0xbe903f40, v14
	v_mul_f32_e32 v5, 0x3f68dda4, v5
	v_add_f32_e32 v38, v38, v42
	v_add_f32_e32 v36, v40, v36
	;; [unrolled: 1-line block ×4, first 2 shown]
	v_mov_b32_e32 v29, v5
	v_add_f32_e32 v37, v37, v38
	v_add_f32_e32 v34, v34, v36
	v_fmac_f32_e32 v35, 0x3e903f40, v14
	v_fmac_f32_e32 v29, 0x3ed4b147, v4
	v_mul_f32_e32 v13, 0x3ed4b147, v13
	v_fma_f32 v4, v4, s5, -v5
	v_sub_f32_e32 v38, v6, v7
	v_add_f32_e32 v34, v35, v34
	v_add_f32_e32 v29, v29, v32
	v_mov_b32_e32 v31, v13
	v_add_f32_e32 v32, v4, v2
	v_add_f32_e32 v35, v53, v54
	;; [unrolled: 1-line block ×3, first 2 shown]
	v_mul_f32_e32 v4, 0xbe903f40, v38
	v_add_f32_e32 v33, v33, v37
	v_fmac_f32_e32 v31, 0xbf68dda4, v14
	v_fmac_f32_e32 v13, 0x3f68dda4, v14
	v_sub_f32_e32 v37, v53, v54
	v_mov_b32_e32 v2, v4
	v_mul_f32_e32 v5, 0xbf75a155, v36
	v_fma_f32 v4, v35, s8, -v4
	v_add_f32_e32 v31, v31, v33
	v_add_f32_e32 v33, v13, v3
	v_mov_b32_e32 v3, v5
	v_add_f32_e32 v4, v4, v8
	v_fmac_f32_e32 v5, 0xbe903f40, v37
	v_mul_f32_e32 v8, 0x3f0a6770, v38
	v_add_f32_e32 v5, v5, v9
	v_mov_b32_e32 v6, v8
	v_mul_f32_e32 v9, 0x3f575c64, v36
	v_fmac_f32_e32 v6, 0x3f575c64, v35
	v_mov_b32_e32 v7, v9
	v_fma_f32 v8, v35, s4, -v8
	v_fmac_f32_e32 v9, 0x3f0a6770, v37
	v_mul_f32_e32 v13, 0xbf4178ce, v38
	v_mul_f32_e32 v14, 0xbf27a4f4, v36
	v_add_f32_e32 v6, v6, v20
	v_add_f32_e32 v8, v8, v10
	v_add_f32_e32 v9, v9, v11
	v_mov_b32_e32 v10, v13
	v_mov_b32_e32 v11, v14
	v_fma_f32 v13, v35, s7, -v13
	v_fmac_f32_e32 v14, 0xbf4178ce, v37
	v_mul_f32_e32 v20, 0x3f68dda4, v38
	v_fmac_f32_e32 v7, 0xbf0a6770, v37
	v_fmac_f32_e32 v10, 0xbf27a4f4, v35
	v_add_f32_e32 v12, v13, v12
	v_add_f32_e32 v13, v14, v22
	v_mov_b32_e32 v14, v20
	v_fma_f32 v20, v35, s5, -v20
	v_fmac_f32_e32 v2, 0xbf75a155, v35
	v_fmac_f32_e32 v3, 0x3e903f40, v37
	v_add_f32_e32 v7, v7, v25
	v_add_f32_e32 v10, v10, v21
	v_mul_f32_e32 v21, 0x3ed4b147, v36
	v_add_f32_e32 v20, v20, v24
	v_mul_f32_e32 v24, 0xbf7d64f0, v38
	v_mul_f32_e32 v25, 0xbe11bafb, v36
	v_add_f32_e32 v2, v2, v15
	v_add_f32_e32 v3, v3, v23
	v_mov_b32_e32 v15, v21
	v_mov_b32_e32 v22, v24
	;; [unrolled: 1-line block ×3, first 2 shown]
	v_fmac_f32_e32 v11, 0x3f4178ce, v37
	v_fmac_f32_e32 v14, 0x3ed4b147, v35
	;; [unrolled: 1-line block ×6, first 2 shown]
	v_fma_f32 v24, v35, s6, -v24
	v_fmac_f32_e32 v25, 0xbf7d64f0, v37
	v_add_f32_e32 v11, v11, v30
	v_add_f32_e32 v14, v14, v26
	;; [unrolled: 1-line block ×8, first 2 shown]
	ds_write2_b64 v17, v[0:1], v[2:3] offset1:66
	ds_write2_b64 v17, v[6:7], v[10:11] offset0:132 offset1:198
	ds_write2_b64 v47, v[14:15], v[22:23] offset0:8 offset1:74
	;; [unrolled: 1-line block ×4, first 2 shown]
	ds_write_b64 v17, v[4:5] offset:5280
	s_waitcnt lgkmcnt(0)
	s_barrier
	s_and_saveexec_b64 s[4:5], s[0:1]
	s_cbranch_execz .LBB0_25
; %bb.24:
	v_lshl_add_u32 v6, v16, 3, v28
	v_mov_b32_e32 v17, 0
	ds_read2_b64 v[0:3], v6 offset1:66
	v_mov_b32_e32 v4, s3
	v_add_co_u32_e32 v7, vcc, s2, v18
	v_addc_co_u32_e32 v8, vcc, v4, v19, vcc
	v_lshlrev_b64 v[4:5], 3, v[16:17]
	v_add_u32_e32 v9, 0x800, v6
	v_add_co_u32_e32 v4, vcc, v7, v4
	v_addc_co_u32_e32 v5, vcc, v8, v5, vcc
	s_waitcnt lgkmcnt(0)
	global_store_dwordx2 v[4:5], v[0:1], off
	v_add_u32_e32 v0, 0x42, v16
	v_mov_b32_e32 v1, v17
	v_lshlrev_b64 v[0:1], 3, v[0:1]
	v_add_u32_e32 v4, 0x84, v16
	v_add_co_u32_e32 v0, vcc, v7, v0
	v_addc_co_u32_e32 v1, vcc, v8, v1, vcc
	global_store_dwordx2 v[0:1], v[2:3], off
	v_mov_b32_e32 v5, v17
	ds_read2_b64 v[0:3], v6 offset0:132 offset1:198
	v_lshlrev_b64 v[4:5], 3, v[4:5]
	v_add_co_u32_e32 v4, vcc, v7, v4
	v_addc_co_u32_e32 v5, vcc, v8, v5, vcc
	s_waitcnt lgkmcnt(0)
	global_store_dwordx2 v[4:5], v[0:1], off
	v_add_u32_e32 v0, 0xc6, v16
	v_mov_b32_e32 v1, v17
	v_lshlrev_b64 v[0:1], 3, v[0:1]
	v_add_u32_e32 v4, 0x108, v16
	v_add_co_u32_e32 v0, vcc, v7, v0
	v_addc_co_u32_e32 v1, vcc, v8, v1, vcc
	global_store_dwordx2 v[0:1], v[2:3], off
	v_mov_b32_e32 v5, v17
	ds_read2_b64 v[0:3], v9 offset0:8 offset1:74
	v_lshlrev_b64 v[4:5], 3, v[4:5]
	;; [unrolled: 14-line block ×3, first 2 shown]
	v_add_co_u32_e32 v4, vcc, v7, v4
	v_addc_co_u32_e32 v5, vcc, v8, v5, vcc
	s_waitcnt lgkmcnt(0)
	global_store_dwordx2 v[4:5], v[0:1], off
	v_add_u32_e32 v0, 0x1ce, v16
	v_mov_b32_e32 v1, v17
	v_lshlrev_b64 v[0:1], 3, v[0:1]
	v_add_u32_e32 v4, 0x210, v16
	v_add_co_u32_e32 v0, vcc, v7, v0
	v_addc_co_u32_e32 v1, vcc, v8, v1, vcc
	global_store_dwordx2 v[0:1], v[2:3], off
	v_add_u32_e32 v0, 0x1000, v6
	v_mov_b32_e32 v5, v17
	ds_read2_b64 v[0:3], v0 offset0:16 offset1:82
	v_lshlrev_b64 v[4:5], 3, v[4:5]
	v_add_co_u32_e32 v4, vcc, v7, v4
	v_addc_co_u32_e32 v5, vcc, v8, v5, vcc
	s_waitcnt lgkmcnt(0)
	global_store_dwordx2 v[4:5], v[0:1], off
	v_add_u32_e32 v0, 0x252, v16
	v_mov_b32_e32 v1, v17
	v_lshlrev_b64 v[0:1], 3, v[0:1]
	v_add_u32_e32 v16, 0x294, v16
	v_add_co_u32_e32 v0, vcc, v7, v0
	v_addc_co_u32_e32 v1, vcc, v8, v1, vcc
	global_store_dwordx2 v[0:1], v[2:3], off
	ds_read_b64 v[0:1], v6 offset:5280
	v_lshlrev_b64 v[2:3], 3, v[16:17]
	v_add_co_u32_e32 v2, vcc, v7, v2
	v_addc_co_u32_e32 v3, vcc, v8, v3, vcc
	s_waitcnt lgkmcnt(0)
	global_store_dwordx2 v[2:3], v[0:1], off
.LBB0_25:
	s_endpgm
	.section	.rodata,"a",@progbits
	.p2align	6, 0x0
	.amdhsa_kernel fft_rtc_back_len726_factors_11_6_11_wgs_132_tpt_66_sp_ip_CI_unitstride_sbrr_C2R_dirReg
		.amdhsa_group_segment_fixed_size 0
		.amdhsa_private_segment_fixed_size 0
		.amdhsa_kernarg_size 88
		.amdhsa_user_sgpr_count 6
		.amdhsa_user_sgpr_private_segment_buffer 1
		.amdhsa_user_sgpr_dispatch_ptr 0
		.amdhsa_user_sgpr_queue_ptr 0
		.amdhsa_user_sgpr_kernarg_segment_ptr 1
		.amdhsa_user_sgpr_dispatch_id 0
		.amdhsa_user_sgpr_flat_scratch_init 0
		.amdhsa_user_sgpr_private_segment_size 0
		.amdhsa_uses_dynamic_stack 0
		.amdhsa_system_sgpr_private_segment_wavefront_offset 0
		.amdhsa_system_sgpr_workgroup_id_x 1
		.amdhsa_system_sgpr_workgroup_id_y 0
		.amdhsa_system_sgpr_workgroup_id_z 0
		.amdhsa_system_sgpr_workgroup_info 0
		.amdhsa_system_vgpr_workitem_id 0
		.amdhsa_next_free_vgpr 57
		.amdhsa_next_free_sgpr 22
		.amdhsa_reserve_vcc 1
		.amdhsa_reserve_flat_scratch 0
		.amdhsa_float_round_mode_32 0
		.amdhsa_float_round_mode_16_64 0
		.amdhsa_float_denorm_mode_32 3
		.amdhsa_float_denorm_mode_16_64 3
		.amdhsa_dx10_clamp 1
		.amdhsa_ieee_mode 1
		.amdhsa_fp16_overflow 0
		.amdhsa_exception_fp_ieee_invalid_op 0
		.amdhsa_exception_fp_denorm_src 0
		.amdhsa_exception_fp_ieee_div_zero 0
		.amdhsa_exception_fp_ieee_overflow 0
		.amdhsa_exception_fp_ieee_underflow 0
		.amdhsa_exception_fp_ieee_inexact 0
		.amdhsa_exception_int_div_zero 0
	.end_amdhsa_kernel
	.text
.Lfunc_end0:
	.size	fft_rtc_back_len726_factors_11_6_11_wgs_132_tpt_66_sp_ip_CI_unitstride_sbrr_C2R_dirReg, .Lfunc_end0-fft_rtc_back_len726_factors_11_6_11_wgs_132_tpt_66_sp_ip_CI_unitstride_sbrr_C2R_dirReg
                                        ; -- End function
	.section	.AMDGPU.csdata,"",@progbits
; Kernel info:
; codeLenInByte = 8576
; NumSgprs: 26
; NumVgprs: 57
; ScratchSize: 0
; MemoryBound: 0
; FloatMode: 240
; IeeeMode: 1
; LDSByteSize: 0 bytes/workgroup (compile time only)
; SGPRBlocks: 3
; VGPRBlocks: 14
; NumSGPRsForWavesPerEU: 26
; NumVGPRsForWavesPerEU: 57
; Occupancy: 4
; WaveLimiterHint : 1
; COMPUTE_PGM_RSRC2:SCRATCH_EN: 0
; COMPUTE_PGM_RSRC2:USER_SGPR: 6
; COMPUTE_PGM_RSRC2:TRAP_HANDLER: 0
; COMPUTE_PGM_RSRC2:TGID_X_EN: 1
; COMPUTE_PGM_RSRC2:TGID_Y_EN: 0
; COMPUTE_PGM_RSRC2:TGID_Z_EN: 0
; COMPUTE_PGM_RSRC2:TIDIG_COMP_CNT: 0
	.type	__hip_cuid_ee25bf5cb72e8c9,@object ; @__hip_cuid_ee25bf5cb72e8c9
	.section	.bss,"aw",@nobits
	.globl	__hip_cuid_ee25bf5cb72e8c9
__hip_cuid_ee25bf5cb72e8c9:
	.byte	0                               ; 0x0
	.size	__hip_cuid_ee25bf5cb72e8c9, 1

	.ident	"AMD clang version 19.0.0git (https://github.com/RadeonOpenCompute/llvm-project roc-6.4.0 25133 c7fe45cf4b819c5991fe208aaa96edf142730f1d)"
	.section	".note.GNU-stack","",@progbits
	.addrsig
	.addrsig_sym __hip_cuid_ee25bf5cb72e8c9
	.amdgpu_metadata
---
amdhsa.kernels:
  - .args:
      - .actual_access:  read_only
        .address_space:  global
        .offset:         0
        .size:           8
        .value_kind:     global_buffer
      - .offset:         8
        .size:           8
        .value_kind:     by_value
      - .actual_access:  read_only
        .address_space:  global
        .offset:         16
        .size:           8
        .value_kind:     global_buffer
      - .actual_access:  read_only
        .address_space:  global
        .offset:         24
        .size:           8
        .value_kind:     global_buffer
      - .offset:         32
        .size:           8
        .value_kind:     by_value
      - .actual_access:  read_only
        .address_space:  global
        .offset:         40
        .size:           8
        .value_kind:     global_buffer
      - .actual_access:  read_only
        .address_space:  global
        .offset:         48
        .size:           8
        .value_kind:     global_buffer
      - .offset:         56
        .size:           4
        .value_kind:     by_value
      - .actual_access:  read_only
        .address_space:  global
        .offset:         64
        .size:           8
        .value_kind:     global_buffer
      - .actual_access:  read_only
        .address_space:  global
        .offset:         72
        .size:           8
        .value_kind:     global_buffer
      - .address_space:  global
        .offset:         80
        .size:           8
        .value_kind:     global_buffer
    .group_segment_fixed_size: 0
    .kernarg_segment_align: 8
    .kernarg_segment_size: 88
    .language:       OpenCL C
    .language_version:
      - 2
      - 0
    .max_flat_workgroup_size: 132
    .name:           fft_rtc_back_len726_factors_11_6_11_wgs_132_tpt_66_sp_ip_CI_unitstride_sbrr_C2R_dirReg
    .private_segment_fixed_size: 0
    .sgpr_count:     26
    .sgpr_spill_count: 0
    .symbol:         fft_rtc_back_len726_factors_11_6_11_wgs_132_tpt_66_sp_ip_CI_unitstride_sbrr_C2R_dirReg.kd
    .uniform_work_group_size: 1
    .uses_dynamic_stack: false
    .vgpr_count:     57
    .vgpr_spill_count: 0
    .wavefront_size: 64
amdhsa.target:   amdgcn-amd-amdhsa--gfx906
amdhsa.version:
  - 1
  - 2
...

	.end_amdgpu_metadata
